;; amdgpu-corpus repo=ROCm/rocFFT kind=compiled arch=gfx950 opt=O3
	.text
	.amdgcn_target "amdgcn-amd-amdhsa--gfx950"
	.amdhsa_code_object_version 6
	.protected	fft_rtc_back_len910_factors_13_2_7_5_wgs_182_tpt_91_sp_ip_CI_sbrr_dirReg ; -- Begin function fft_rtc_back_len910_factors_13_2_7_5_wgs_182_tpt_91_sp_ip_CI_sbrr_dirReg
	.globl	fft_rtc_back_len910_factors_13_2_7_5_wgs_182_tpt_91_sp_ip_CI_sbrr_dirReg
	.p2align	8
	.type	fft_rtc_back_len910_factors_13_2_7_5_wgs_182_tpt_91_sp_ip_CI_sbrr_dirReg,@function
fft_rtc_back_len910_factors_13_2_7_5_wgs_182_tpt_91_sp_ip_CI_sbrr_dirReg: ; @fft_rtc_back_len910_factors_13_2_7_5_wgs_182_tpt_91_sp_ip_CI_sbrr_dirReg
; %bb.0:
	s_load_dwordx2 s[12:13], s[0:1], 0x18
	s_load_dwordx4 s[4:7], s[0:1], 0x0
	s_load_dwordx2 s[10:11], s[0:1], 0x50
	v_mul_u32_u24_e32 v1, 0x2d1, v0
	v_lshrrev_b32_e32 v126, 16, v1
	s_waitcnt lgkmcnt(0)
	s_load_dwordx2 s[8:9], s[12:13], 0x0
	v_lshl_add_u32 v6, s2, 1, v126
	v_mov_b32_e32 v4, 0
	v_cmp_lt_u64_e64 s[2:3], s[6:7], 2
	v_mov_b32_e32 v7, v4
	s_and_b64 vcc, exec, s[2:3]
	v_mov_b64_e32 v[2:3], 0
	s_cbranch_vccnz .LBB0_8
; %bb.1:
	s_load_dwordx2 s[2:3], s[0:1], 0x10
	s_add_u32 s14, s12, 8
	s_addc_u32 s15, s13, 0
	s_mov_b64 s[16:17], 1
	v_mov_b64_e32 v[2:3], 0
	s_waitcnt lgkmcnt(0)
	s_add_u32 s18, s2, 8
	s_addc_u32 s19, s3, 0
.LBB0_2:                                ; =>This Inner Loop Header: Depth=1
	s_load_dwordx2 s[20:21], s[18:19], 0x0
                                        ; implicit-def: $vgpr8_vgpr9
	s_waitcnt lgkmcnt(0)
	v_or_b32_e32 v5, s21, v7
	v_cmp_ne_u64_e32 vcc, 0, v[4:5]
	s_and_saveexec_b64 s[2:3], vcc
	s_xor_b64 s[22:23], exec, s[2:3]
	s_cbranch_execz .LBB0_4
; %bb.3:                                ;   in Loop: Header=BB0_2 Depth=1
	v_cvt_f32_u32_e32 v1, s20
	v_cvt_f32_u32_e32 v5, s21
	s_sub_u32 s2, 0, s20
	s_subb_u32 s3, 0, s21
	v_fmac_f32_e32 v1, 0x4f800000, v5
	v_rcp_f32_e32 v1, v1
	s_nop 0
	v_mul_f32_e32 v1, 0x5f7ffffc, v1
	v_mul_f32_e32 v5, 0x2f800000, v1
	v_trunc_f32_e32 v5, v5
	v_fmac_f32_e32 v1, 0xcf800000, v5
	v_cvt_u32_f32_e32 v5, v5
	v_cvt_u32_f32_e32 v1, v1
	v_mul_lo_u32 v8, s2, v5
	v_mul_hi_u32 v10, s2, v1
	v_mul_lo_u32 v9, s3, v1
	v_add_u32_e32 v10, v10, v8
	v_mul_lo_u32 v12, s2, v1
	v_add_u32_e32 v13, v10, v9
	v_mul_hi_u32 v8, v1, v12
	v_mul_hi_u32 v11, v1, v13
	v_mul_lo_u32 v10, v1, v13
	v_mov_b32_e32 v9, v4
	v_lshl_add_u64 v[8:9], v[8:9], 0, v[10:11]
	v_mul_hi_u32 v11, v5, v12
	v_mul_lo_u32 v12, v5, v12
	v_add_co_u32_e32 v8, vcc, v8, v12
	v_mul_hi_u32 v10, v5, v13
	s_nop 0
	v_addc_co_u32_e32 v8, vcc, v9, v11, vcc
	v_mov_b32_e32 v9, v4
	s_nop 0
	v_addc_co_u32_e32 v11, vcc, 0, v10, vcc
	v_mul_lo_u32 v10, v5, v13
	v_lshl_add_u64 v[8:9], v[8:9], 0, v[10:11]
	v_add_co_u32_e32 v1, vcc, v1, v8
	v_mul_lo_u32 v10, s2, v1
	s_nop 0
	v_addc_co_u32_e32 v5, vcc, v5, v9, vcc
	v_mul_lo_u32 v8, s2, v5
	v_mul_hi_u32 v9, s2, v1
	v_add_u32_e32 v8, v9, v8
	v_mul_lo_u32 v9, s3, v1
	v_add_u32_e32 v12, v8, v9
	v_mul_hi_u32 v14, v5, v10
	v_mul_lo_u32 v15, v5, v10
	v_mul_hi_u32 v9, v1, v12
	v_mul_lo_u32 v8, v1, v12
	v_mul_hi_u32 v10, v1, v10
	v_mov_b32_e32 v11, v4
	v_lshl_add_u64 v[8:9], v[10:11], 0, v[8:9]
	v_add_co_u32_e32 v8, vcc, v8, v15
	v_mul_hi_u32 v13, v5, v12
	s_nop 0
	v_addc_co_u32_e32 v8, vcc, v9, v14, vcc
	v_mul_lo_u32 v10, v5, v12
	s_nop 0
	v_addc_co_u32_e32 v11, vcc, 0, v13, vcc
	v_mov_b32_e32 v9, v4
	v_lshl_add_u64 v[8:9], v[8:9], 0, v[10:11]
	v_add_co_u32_e32 v1, vcc, v1, v8
	v_mul_hi_u32 v10, v6, v1
	s_nop 0
	v_addc_co_u32_e32 v5, vcc, v5, v9, vcc
	v_mad_u64_u32 v[8:9], s[2:3], v6, v5, 0
	v_mov_b32_e32 v11, v4
	v_lshl_add_u64 v[8:9], v[10:11], 0, v[8:9]
	v_mad_u64_u32 v[12:13], s[2:3], v7, v1, 0
	v_add_co_u32_e32 v1, vcc, v8, v12
	v_mad_u64_u32 v[10:11], s[2:3], v7, v5, 0
	s_nop 0
	v_addc_co_u32_e32 v8, vcc, v9, v13, vcc
	v_mov_b32_e32 v9, v4
	s_nop 0
	v_addc_co_u32_e32 v11, vcc, 0, v11, vcc
	v_lshl_add_u64 v[8:9], v[8:9], 0, v[10:11]
	v_mul_lo_u32 v1, s21, v8
	v_mul_lo_u32 v5, s20, v9
	v_mad_u64_u32 v[10:11], s[2:3], s20, v8, 0
	v_add3_u32 v1, v11, v5, v1
	v_sub_u32_e32 v5, v7, v1
	v_mov_b32_e32 v11, s21
	v_sub_co_u32_e32 v14, vcc, v6, v10
	v_lshl_add_u64 v[12:13], v[8:9], 0, 1
	s_nop 0
	v_subb_co_u32_e64 v5, s[2:3], v5, v11, vcc
	v_subrev_co_u32_e64 v10, s[2:3], s20, v14
	v_subb_co_u32_e32 v1, vcc, v7, v1, vcc
	s_nop 0
	v_subbrev_co_u32_e64 v5, s[2:3], 0, v5, s[2:3]
	v_cmp_le_u32_e64 s[2:3], s21, v5
	v_cmp_le_u32_e32 vcc, s21, v1
	s_nop 0
	v_cndmask_b32_e64 v11, 0, -1, s[2:3]
	v_cmp_le_u32_e64 s[2:3], s20, v10
	s_nop 1
	v_cndmask_b32_e64 v10, 0, -1, s[2:3]
	v_cmp_eq_u32_e64 s[2:3], s21, v5
	s_nop 1
	v_cndmask_b32_e64 v5, v11, v10, s[2:3]
	v_lshl_add_u64 v[10:11], v[8:9], 0, 2
	v_cmp_ne_u32_e64 s[2:3], 0, v5
	s_nop 1
	v_cndmask_b32_e64 v5, v13, v11, s[2:3]
	v_cndmask_b32_e64 v11, 0, -1, vcc
	v_cmp_le_u32_e32 vcc, s20, v14
	s_nop 1
	v_cndmask_b32_e64 v13, 0, -1, vcc
	v_cmp_eq_u32_e32 vcc, s21, v1
	s_nop 1
	v_cndmask_b32_e32 v1, v11, v13, vcc
	v_cmp_ne_u32_e32 vcc, 0, v1
	v_cndmask_b32_e64 v1, v12, v10, s[2:3]
	s_nop 0
	v_cndmask_b32_e32 v9, v9, v5, vcc
	v_cndmask_b32_e32 v8, v8, v1, vcc
.LBB0_4:                                ;   in Loop: Header=BB0_2 Depth=1
	s_andn2_saveexec_b64 s[2:3], s[22:23]
	s_cbranch_execz .LBB0_6
; %bb.5:                                ;   in Loop: Header=BB0_2 Depth=1
	v_cvt_f32_u32_e32 v1, s20
	s_sub_i32 s22, 0, s20
	v_rcp_iflag_f32_e32 v1, v1
	s_nop 0
	v_mul_f32_e32 v1, 0x4f7ffffe, v1
	v_cvt_u32_f32_e32 v1, v1
	v_mul_lo_u32 v5, s22, v1
	v_mul_hi_u32 v5, v1, v5
	v_add_u32_e32 v1, v1, v5
	v_mul_hi_u32 v1, v6, v1
	v_mul_lo_u32 v5, v1, s20
	v_sub_u32_e32 v5, v6, v5
	v_add_u32_e32 v8, 1, v1
	v_subrev_u32_e32 v9, s20, v5
	v_cmp_le_u32_e32 vcc, s20, v5
	s_nop 1
	v_cndmask_b32_e32 v5, v5, v9, vcc
	v_cndmask_b32_e32 v1, v1, v8, vcc
	v_add_u32_e32 v8, 1, v1
	v_cmp_le_u32_e32 vcc, s20, v5
	v_mov_b32_e32 v9, v4
	s_nop 0
	v_cndmask_b32_e32 v8, v1, v8, vcc
.LBB0_6:                                ;   in Loop: Header=BB0_2 Depth=1
	s_or_b64 exec, exec, s[2:3]
	v_mad_u64_u32 v[10:11], s[2:3], v8, s20, 0
	s_load_dwordx2 s[2:3], s[14:15], 0x0
	v_mul_lo_u32 v1, v9, s20
	v_mul_lo_u32 v5, v8, s21
	v_add3_u32 v1, v11, v5, v1
	v_sub_co_u32_e32 v5, vcc, v6, v10
	s_add_u32 s16, s16, 1
	s_nop 0
	v_subb_co_u32_e32 v1, vcc, v7, v1, vcc
	s_addc_u32 s17, s17, 0
	s_waitcnt lgkmcnt(0)
	v_mul_lo_u32 v1, s2, v1
	v_mul_lo_u32 v6, s3, v5
	v_mad_u64_u32 v[2:3], s[2:3], s2, v5, v[2:3]
	s_add_u32 s14, s14, 8
	v_add3_u32 v3, v6, v3, v1
	s_addc_u32 s15, s15, 0
	v_mov_b64_e32 v[6:7], s[6:7]
	s_add_u32 s18, s18, 8
	v_cmp_ge_u64_e32 vcc, s[16:17], v[6:7]
	s_addc_u32 s19, s19, 0
	s_cbranch_vccnz .LBB0_9
; %bb.7:                                ;   in Loop: Header=BB0_2 Depth=1
	v_mov_b64_e32 v[6:7], v[8:9]
	s_branch .LBB0_2
.LBB0_8:
	v_mov_b64_e32 v[8:9], v[6:7]
.LBB0_9:
	s_lshl_b64 s[2:3], s[6:7], 3
	s_add_u32 s2, s12, s2
	s_addc_u32 s3, s13, s3
	s_load_dwordx2 s[6:7], s[2:3], 0x0
	s_load_dwordx2 s[12:13], s[0:1], 0x20
	v_mov_b32_e32 v6, 0
	v_mov_b32_e32 v7, v6
                                        ; implicit-def: $vgpr26
                                        ; implicit-def: $vgpr28
                                        ; implicit-def: $vgpr30
                                        ; implicit-def: $vgpr32
                                        ; implicit-def: $vgpr34
                                        ; implicit-def: $vgpr36
                                        ; implicit-def: $vgpr38
                                        ; implicit-def: $vgpr40
                                        ; implicit-def: $vgpr44
                                        ; implicit-def: $vgpr48
                                        ; implicit-def: $vgpr42
                                        ; implicit-def: $vgpr46
	s_waitcnt lgkmcnt(0)
	v_mad_u64_u32 v[2:3], s[0:1], s6, v8, v[2:3]
	v_mul_lo_u32 v1, s6, v9
	v_mul_lo_u32 v4, s7, v8
	s_mov_b32 s0, 0x2d02d03
	v_add3_u32 v3, v4, v3, v1
	v_mul_hi_u32 v1, v0, s0
	v_mul_u32_u24_e32 v1, 0x5b, v1
	v_sub_u32_e32 v130, v0, v1
	s_movk_i32 s0, 0x46
	v_cmp_gt_u64_e32 vcc, s[12:13], v[8:9]
	v_cmp_gt_u32_e64 s[0:1], s0, v130
	s_and_b64 s[6:7], vcc, s[0:1]
	v_lshl_add_u64 v[24:25], v[2:3], 3, s[10:11]
	s_and_saveexec_b64 s[2:3], s[6:7]
	s_cbranch_execz .LBB0_11
; %bb.10:
	v_mad_u64_u32 v[0:1], s[6:7], s8, v130, 0
	v_mov_b32_e32 v2, v1
	v_mad_u64_u32 v[2:3], s[6:7], s9, v130, v[2:3]
	v_add_u32_e32 v5, 0x46, v130
	v_mov_b32_e32 v1, v2
	v_mad_u64_u32 v[2:3], s[6:7], s8, v5, 0
	v_mov_b32_e32 v4, v3
	v_mad_u64_u32 v[4:5], s[6:7], s9, v5, v[4:5]
	v_add_u32_e32 v7, 0x8c, v130
	v_mov_b32_e32 v3, v4
	;; [unrolled: 5-line block ×3, first 2 shown]
	v_mad_u64_u32 v[6:7], s[6:7], s8, v9, 0
	v_mov_b32_e32 v8, v7
	v_mad_u64_u32 v[8:9], s[6:7], s9, v9, v[8:9]
	v_mov_b32_e32 v7, v8
	v_add_u32_e32 v11, 0x118, v130
	v_lshl_add_u64 v[8:9], v[6:7], 3, v[24:25]
	v_mad_u64_u32 v[6:7], s[6:7], s8, v11, 0
	v_mov_b32_e32 v10, v7
	v_mad_u64_u32 v[10:11], s[6:7], s9, v11, v[10:11]
	v_mov_b32_e32 v7, v10
	v_add_u32_e32 v13, 0x15e, v130
	v_lshl_add_u64 v[10:11], v[6:7], 3, v[24:25]
	;; [unrolled: 6-line block ×8, first 2 shown]
	v_mad_u64_u32 v[6:7], s[6:7], s8, v27, 0
	v_mov_b32_e32 v26, v7
	v_mad_u64_u32 v[26:27], s[6:7], s9, v27, v[26:27]
	v_lshl_add_u64 v[4:5], v[4:5], 3, v[24:25]
	v_mov_b32_e32 v7, v26
	v_lshl_add_u64 v[0:1], v[0:1], 3, v[24:25]
	v_lshl_add_u64 v[2:3], v[2:3], 3, v[24:25]
	;; [unrolled: 1-line block ×3, first 2 shown]
	global_load_dwordx2 v[38:39], v[4:5], off
	global_load_dwordx2 v[42:43], v[8:9], off
	;; [unrolled: 1-line block ×12, first 2 shown]
	v_add_u32_e32 v3, 0x348, v130
	v_mad_u64_u32 v[0:1], s[6:7], s8, v3, 0
	v_mov_b32_e32 v2, v1
	v_mad_u64_u32 v[2:3], s[6:7], s9, v3, v[2:3]
	v_mov_b32_e32 v1, v2
	v_lshl_add_u64 v[0:1], v[0:1], 3, v[24:25]
	global_load_dwordx2 v[48:49], v[0:1], off
.LBB0_11:
	s_or_b64 exec, exec, s[2:3]
	s_waitcnt vmcnt(0)
	v_pk_add_f32 v[16:17], v[44:45], v[48:49] neg_lo:[0,1] neg_hi:[0,1]
	s_mov_b32 s22, 0xbf52af12
	v_pk_add_f32 v[14:15], v[44:45], v[48:49]
	v_pk_add_f32 v[18:19], v[38:39], v[40:41] neg_lo:[0,1] neg_hi:[0,1]
	s_mov_b32 s6, 0x3f116cb1
	s_mov_b32 s14, 0xbf6f5d39
	v_pk_mul_f32 v[0:1], v[16:17], s[22:23] op_sel_hi:[1,0]
	v_pk_add_f32 v[12:13], v[38:39], v[40:41]
	s_mov_b32 s10, 0xbeb58ec6
	v_pk_fma_f32 v[58:59], v[14:15], s[6:7], v[0:1] op_sel:[0,0,1] op_sel_hi:[1,0,0]
	v_pk_fma_f32 v[60:61], v[14:15], s[6:7], v[0:1] op_sel:[0,0,1] op_sel_hi:[1,0,0] neg_lo:[0,0,1] neg_hi:[0,0,1]
	v_pk_mul_f32 v[2:3], v[18:19], s[14:15] op_sel_hi:[1,0]
	v_mov_b32_e32 v0, v60
	v_mov_b32_e32 v1, v59
	v_pk_fma_f32 v[62:63], v[12:13], s[10:11], v[2:3] op_sel:[0,0,1] op_sel_hi:[1,0,0]
	v_pk_fma_f32 v[64:65], v[12:13], s[10:11], v[2:3] op_sel:[0,0,1] op_sel_hi:[1,0,0] neg_lo:[0,0,1] neg_hi:[0,0,1]
	v_pk_add_f32 v[20:21], v[42:43], v[46:47] neg_lo:[0,1] neg_hi:[0,1]
	s_mov_b32 s18, 0xbe750f2a
	v_pk_add_f32 v[0:1], v[6:7], v[0:1]
	v_mov_b32_e32 v2, v64
	v_mov_b32_e32 v3, v63
	v_pk_add_f32 v[10:11], v[42:43], v[46:47]
	s_mov_b32 s16, 0xbf788fa5
	v_pk_add_f32 v[0:1], v[2:3], v[0:1]
	v_pk_mul_f32 v[2:3], v[20:21], s[18:19] op_sel_hi:[1,0]
	v_pk_add_f32 v[22:23], v[34:35], v[36:37] neg_lo:[0,1] neg_hi:[0,1]
	v_pk_fma_f32 v[66:67], v[10:11], s[16:17], v[2:3] op_sel:[0,0,1] op_sel_hi:[1,0,0]
	v_pk_fma_f32 v[68:69], v[10:11], s[16:17], v[2:3] op_sel:[0,0,1] op_sel_hi:[1,0,0] neg_lo:[0,0,1] neg_hi:[0,0,1]
	v_mov_b32_e32 v3, v67
	v_mov_b32_e32 v2, v68
	s_mov_b32 s34, 0x3f29c268
	v_pk_add_f32 v[8:9], v[34:35], v[36:37]
	s_mov_b32 s12, 0xbf3f9e67
	v_pk_add_f32 v[0:1], v[0:1], v[2:3]
	v_pk_mul_f32 v[2:3], v[22:23], s[34:35] op_sel_hi:[1,0]
	s_mov_b32 s24, 0x3f7e222b
	v_pk_fma_f32 v[70:71], v[8:9], s[12:13], v[2:3] op_sel:[0,0,1] op_sel_hi:[1,0,0]
	v_pk_fma_f32 v[72:73], v[8:9], s[12:13], v[2:3] op_sel:[0,0,1] op_sel_hi:[1,0,0] neg_lo:[0,0,1] neg_hi:[0,0,1]
	v_mov_b32_e32 v3, v71
	v_mov_b32_e32 v2, v72
	v_pk_add_f32 v[52:53], v[30:31], v[32:33] neg_lo:[0,1] neg_hi:[0,1]
	v_pk_add_f32 v[0:1], v[2:3], v[0:1]
	s_mov_b32 s20, 0x3df6dbef
	v_pk_add_f32 v[50:51], v[30:31], v[32:33]
	v_pk_mul_f32 v[2:3], v[52:53], s[24:25] op_sel_hi:[1,0]
	s_mov_b32 s36, 0xbf7e222b
	v_pk_fma_f32 v[74:75], v[50:51], s[20:21], v[2:3] op_sel:[0,0,1] op_sel_hi:[1,0,0]
	v_pk_fma_f32 v[76:77], v[50:51], s[20:21], v[2:3] op_sel:[0,0,1] op_sel_hi:[1,0,0] neg_lo:[0,0,1] neg_hi:[0,0,1]
	v_mov_b32_e32 v3, v75
	v_mov_b32_e32 v2, v76
	v_pk_add_f32 v[0:1], v[2:3], v[0:1]
	v_pk_mul_f32 v[2:3], v[16:17], s[36:37] op_sel_hi:[1,0]
	v_pk_mul_f32 v[4:5], v[18:19], s[18:19] op_sel_hi:[1,0]
	v_pk_fma_f32 v[78:79], v[14:15], s[20:21], v[2:3] op_sel:[0,0,1] op_sel_hi:[1,0,0]
	v_pk_fma_f32 v[80:81], v[14:15], s[20:21], v[2:3] op_sel:[0,0,1] op_sel_hi:[1,0,0] neg_lo:[0,0,1] neg_hi:[0,0,1]
	v_mov_b32_e32 v3, v79
	v_mov_b32_e32 v2, v80
	v_pk_fma_f32 v[82:83], v[12:13], s[16:17], v[4:5] op_sel:[0,0,1] op_sel_hi:[1,0,0]
	v_pk_fma_f32 v[84:85], v[12:13], s[16:17], v[4:5] op_sel:[0,0,1] op_sel_hi:[1,0,0] neg_lo:[0,0,1] neg_hi:[0,0,1]
	v_pk_add_f32 v[2:3], v[6:7], v[2:3]
	v_mov_b32_e32 v4, v84
	v_mov_b32_e32 v5, v83
	s_mov_b32 s2, 0x3f6f5d39
	v_pk_add_f32 v[2:3], v[4:5], v[2:3]
	v_pk_mul_f32 v[4:5], v[20:21], s[2:3] op_sel_hi:[1,0]
	s_mov_b32 s28, 0x3eedf032
	v_pk_fma_f32 v[86:87], v[10:11], s[10:11], v[4:5] op_sel:[0,0,1] op_sel_hi:[1,0,0]
	v_pk_fma_f32 v[88:89], v[10:11], s[10:11], v[4:5] op_sel:[0,0,1] op_sel_hi:[1,0,0] neg_lo:[0,0,1] neg_hi:[0,0,1]
	v_mov_b32_e32 v5, v87
	v_mov_b32_e32 v4, v88
	v_pk_add_f32 v[2:3], v[2:3], v[4:5]
	s_mov_b32 s26, 0x3f62ad3f
	v_pk_mul_f32 v[4:5], v[22:23], s[28:29] op_sel_hi:[1,0]
	v_pk_add_f32 v[56:57], v[26:27], v[28:29] neg_lo:[0,1] neg_hi:[0,1]
	v_pk_fma_f32 v[90:91], v[8:9], s[26:27], v[4:5] op_sel:[0,0,1] op_sel_hi:[1,0,0]
	v_pk_fma_f32 v[92:93], v[8:9], s[26:27], v[4:5] op_sel:[0,0,1] op_sel_hi:[1,0,0] neg_lo:[0,0,1] neg_hi:[0,0,1]
	v_mov_b32_e32 v5, v91
	v_mov_b32_e32 v4, v92
	v_pk_add_f32 v[2:3], v[4:5], v[2:3]
	v_pk_mul_f32 v[4:5], v[52:53], s[22:23] op_sel_hi:[1,0]
	v_pk_add_f32 v[54:55], v[26:27], v[28:29]
	v_pk_fma_f32 v[94:95], v[50:51], s[6:7], v[4:5] op_sel:[0,0,1] op_sel_hi:[1,0,0]
	v_pk_fma_f32 v[96:97], v[50:51], s[6:7], v[4:5] op_sel:[0,0,1] op_sel_hi:[1,0,0] neg_lo:[0,0,1] neg_hi:[0,0,1]
	v_mov_b32_e32 v5, v95
	v_mov_b32_e32 v4, v96
	v_pk_add_f32 v[4:5], v[4:5], v[2:3]
	v_pk_mul_f32 v[2:3], v[56:57], s[28:29] op_sel_hi:[1,0]
	s_mov_b32 s30, 0xbf29c268
	v_pk_fma_f32 v[102:103], v[54:55], s[26:27], v[2:3] op_sel:[0,0,1] op_sel_hi:[1,0,0]
	v_pk_fma_f32 v[104:105], v[54:55], s[26:27], v[2:3] op_sel:[0,0,1] op_sel_hi:[1,0,0] neg_lo:[0,0,1] neg_hi:[0,0,1]
	v_mov_b32_e32 v3, v103
	v_mov_b32_e32 v2, v104
	v_pk_add_f32 v[2:3], v[2:3], v[0:1]
	v_pk_mul_f32 v[0:1], v[56:57], s[30:31] op_sel_hi:[1,0]
	s_mov_b32 s2, 0xbeedf032
	v_pk_fma_f32 v[98:99], v[54:55], s[12:13], v[0:1] op_sel:[0,0,1] op_sel_hi:[1,0,0]
	v_pk_fma_f32 v[100:101], v[54:55], s[12:13], v[0:1] op_sel:[0,0,1] op_sel_hi:[1,0,0] neg_lo:[0,0,1] neg_hi:[0,0,1]
	v_mov_b32_e32 v1, v99
	v_mov_b32_e32 v0, v100
	v_pk_add_f32 v[0:1], v[0:1], v[4:5]
	v_pk_mul_f32 v[4:5], v[16:17], s[2:3] op_sel_hi:[1,0]
	v_pk_mul_f32 v[112:113], v[18:19], s[22:23] op_sel_hi:[1,0]
	v_pk_fma_f32 v[106:107], v[14:15], s[26:27], v[4:5] op_sel:[0,0,1] op_sel_hi:[1,0,0]
	v_pk_fma_f32 v[108:109], v[14:15], s[26:27], v[4:5] op_sel:[0,0,1] op_sel_hi:[1,0,0] neg_lo:[0,0,1] neg_hi:[0,0,1]
	v_mov_b32_e32 v5, v107
	v_mov_b32_e32 v4, v108
	v_pk_fma_f32 v[110:111], v[12:13], s[6:7], v[112:113] op_sel:[0,0,1] op_sel_hi:[1,0,0]
	v_pk_fma_f32 v[112:113], v[12:13], s[6:7], v[112:113] op_sel:[0,0,1] op_sel_hi:[1,0,0] neg_lo:[0,0,1] neg_hi:[0,0,1]
	v_pk_add_f32 v[4:5], v[6:7], v[4:5]
	v_mov_b32_e32 v114, v112
	v_mov_b32_e32 v115, v111
	v_pk_mul_f32 v[116:117], v[20:21], s[36:37] op_sel_hi:[1,0]
	v_pk_add_f32 v[4:5], v[114:115], v[4:5]
	v_pk_fma_f32 v[114:115], v[10:11], s[20:21], v[116:117] op_sel:[0,0,1] op_sel_hi:[1,0,0]
	v_pk_fma_f32 v[116:117], v[10:11], s[20:21], v[116:117] op_sel:[0,0,1] op_sel_hi:[1,0,0] neg_lo:[0,0,1] neg_hi:[0,0,1]
	v_mov_b32_e32 v119, v115
	v_mov_b32_e32 v118, v116
	v_pk_mul_f32 v[120:121], v[22:23], s[14:15] op_sel_hi:[1,0]
	v_pk_add_f32 v[4:5], v[4:5], v[118:119]
	v_pk_fma_f32 v[118:119], v[8:9], s[10:11], v[120:121] op_sel:[0,0,1] op_sel_hi:[1,0,0]
	v_pk_fma_f32 v[120:121], v[8:9], s[10:11], v[120:121] op_sel:[0,0,1] op_sel_hi:[1,0,0] neg_lo:[0,0,1] neg_hi:[0,0,1]
	;; [unrolled: 6-line block ×3, first 2 shown]
	v_mov_b32_e32 v129, v123
	v_mov_b32_e32 v128, v124
	v_pk_add_f32 v[4:5], v[128:129], v[4:5]
	v_and_b32_e32 v59, 1, v126
	v_pk_mul_f32 v[128:129], v[56:57], s[18:19] op_sel_hi:[1,0]
	v_mov_b32_e32 v60, 0x38e
	v_cmp_eq_u32_e64 s[2:3], 1, v59
	v_pk_fma_f32 v[126:127], v[54:55], s[16:17], v[128:129] op_sel:[0,0,1] op_sel_hi:[1,0,0]
	v_pk_fma_f32 v[128:129], v[54:55], s[16:17], v[128:129] op_sel:[0,0,1] op_sel_hi:[1,0,0] neg_lo:[0,0,1] neg_hi:[0,0,1]
	v_cndmask_b32_e64 v59, 0, v60, s[2:3]
	v_mov_b32_e32 v132, v128
	v_mov_b32_e32 v133, v127
	v_pk_add_f32 v[4:5], v[132:133], v[4:5]
	v_lshlrev_b32_e32 v60, 3, v59
	s_and_saveexec_b64 s[2:3], s[0:1]
	s_cbranch_execz .LBB0_13
; %bb.12:
	v_pk_add_f32 v[44:45], v[6:7], v[44:45]
	v_mov_b32_e32 v107, v109
	v_pk_add_f32 v[38:39], v[44:45], v[38:39]
	v_mov_b32_e32 v111, v113
	;; [unrolled: 2-line block ×5, first 2 shown]
	v_pk_add_f32 v[26:27], v[30:31], v[26:27]
	v_mul_u32_u24_e32 v30, 0x68, v130
	v_pk_add_f32 v[26:27], v[26:27], v[28:29]
	v_pk_add_f32 v[28:29], v[6:7], v[106:107]
	;; [unrolled: 1-line block ×10, first 2 shown]
	v_mov_b32_e32 v127, v129
	v_add3_u32 v92, 0, v30, v60
	v_pk_add_f32 v[26:27], v[48:49], v[26:27]
	v_pk_add_f32 v[28:29], v[126:127], v[28:29]
	v_mov_b32_e32 v59, v61
	v_mov_b32_e32 v79, v81
	ds_write2_b64 v92, v[26:27], v[28:29] offset1:1
	v_pk_add_f32 v[26:27], v[6:7], v[58:59]
	v_mov_b32_e32 v63, v65
	v_pk_add_f32 v[28:29], v[6:7], v[78:79]
	v_mov_b32_e32 v83, v85
	v_pk_add_f32 v[26:27], v[62:63], v[26:27]
	v_mov_b32_e32 v67, v69
	v_pk_add_f32 v[28:29], v[82:83], v[28:29]
	v_mov_b32_e32 v87, v89
	v_pk_add_f32 v[26:27], v[26:27], v[66:67]
	v_mov_b32_e32 v71, v73
	v_pk_add_f32 v[28:29], v[28:29], v[86:87]
	v_mov_b32_e32 v91, v93
	v_pk_add_f32 v[26:27], v[70:71], v[26:27]
	v_mov_b32_e32 v75, v77
	v_pk_add_f32 v[28:29], v[90:91], v[28:29]
	v_mov_b32_e32 v95, v97
	v_pk_add_f32 v[26:27], v[74:75], v[26:27]
	v_mov_b32_e32 v103, v105
	v_pk_add_f32 v[28:29], v[94:95], v[28:29]
	v_mov_b32_e32 v99, v101
	v_pk_add_f32 v[26:27], v[102:103], v[26:27]
	v_pk_add_f32 v[28:29], v[98:99], v[28:29]
	ds_write2_b64 v92, v[26:27], v[28:29] offset0:2 offset1:3
	v_pk_mul_f32 v[26:27], v[16:17], s[14:15] op_sel_hi:[1,0]
	v_pk_mul_f32 v[28:29], v[18:19], s[34:35] op_sel_hi:[1,0]
	v_pk_fma_f32 v[38:39], v[14:15], s[10:11], v[26:27] op_sel:[0,0,1] op_sel_hi:[1,0,0]
	v_pk_fma_f32 v[26:27], v[14:15], s[10:11], v[26:27] op_sel:[0,0,1] op_sel_hi:[1,0,0] neg_lo:[0,0,1] neg_hi:[0,0,1]
	v_mov_b32_e32 v40, v38
	v_mov_b32_e32 v41, v27
	v_pk_fma_f32 v[42:43], v[12:13], s[12:13], v[28:29] op_sel:[0,0,1] op_sel_hi:[1,0,0]
	v_pk_fma_f32 v[28:29], v[12:13], s[12:13], v[28:29] op_sel:[0,0,1] op_sel_hi:[1,0,0] neg_lo:[0,0,1] neg_hi:[0,0,1]
	v_pk_mul_f32 v[30:31], v[20:21], s[28:29] op_sel_hi:[1,0]
	v_pk_add_f32 v[40:41], v[6:7], v[40:41]
	v_mov_b32_e32 v44, v42
	v_mov_b32_e32 v45, v29
	v_pk_add_f32 v[40:41], v[44:45], v[40:41]
	v_pk_fma_f32 v[44:45], v[10:11], s[26:27], v[30:31] op_sel:[0,0,1] op_sel_hi:[1,0,0]
	v_pk_fma_f32 v[30:31], v[10:11], s[26:27], v[30:31] op_sel:[0,0,1] op_sel_hi:[1,0,0] neg_lo:[0,0,1] neg_hi:[0,0,1]
	v_pk_mul_f32 v[32:33], v[22:23], s[36:37] op_sel_hi:[1,0]
	v_mov_b32_e32 v46, v44
	v_mov_b32_e32 v47, v31
	s_mov_b32 s0, 0x3e750f2a
	v_pk_add_f32 v[40:41], v[40:41], v[46:47]
	v_pk_fma_f32 v[46:47], v[8:9], s[20:21], v[32:33] op_sel:[0,0,1] op_sel_hi:[1,0,0]
	v_pk_fma_f32 v[32:33], v[8:9], s[20:21], v[32:33] op_sel:[0,0,1] op_sel_hi:[1,0,0] neg_lo:[0,0,1] neg_hi:[0,0,1]
	v_pk_mul_f32 v[34:35], v[52:53], s[0:1] op_sel_hi:[1,0]
	v_mov_b32_e32 v48, v46
	v_mov_b32_e32 v49, v33
	s_mov_b32 s34, 0x3f52af12
	v_pk_add_f32 v[40:41], v[48:49], v[40:41]
	v_pk_fma_f32 v[48:49], v[50:51], s[16:17], v[34:35] op_sel:[0,0,1] op_sel_hi:[1,0,0]
	v_pk_fma_f32 v[34:35], v[50:51], s[16:17], v[34:35] op_sel:[0,0,1] op_sel_hi:[1,0,0] neg_lo:[0,0,1] neg_hi:[0,0,1]
	v_pk_mul_f32 v[36:37], v[56:57], s[34:35] op_sel_hi:[1,0]
	v_mov_b32_e32 v58, v48
	v_mov_b32_e32 v59, v35
	v_pk_add_f32 v[40:41], v[58:59], v[40:41]
	v_pk_fma_f32 v[58:59], v[54:55], s[6:7], v[36:37] op_sel:[0,0,1] op_sel_hi:[1,0,0]
	v_pk_fma_f32 v[36:37], v[54:55], s[6:7], v[36:37] op_sel:[0,0,1] op_sel_hi:[1,0,0] neg_lo:[0,0,1] neg_hi:[0,0,1]
	v_mov_b32_e32 v62, v58
	v_mov_b32_e32 v63, v37
	v_pk_add_f32 v[40:41], v[62:63], v[40:41]
	v_pk_mul_f32 v[62:63], v[16:17], s[30:31] op_sel_hi:[1,0]
	v_pk_mul_f32 v[64:65], v[18:19], s[24:25] op_sel_hi:[1,0]
	v_pk_fma_f32 v[74:75], v[14:15], s[12:13], v[62:63] op_sel:[0,0,1] op_sel_hi:[1,0,0]
	v_pk_fma_f32 v[62:63], v[14:15], s[12:13], v[62:63] op_sel:[0,0,1] op_sel_hi:[1,0,0] neg_lo:[0,0,1] neg_hi:[0,0,1]
	v_mov_b32_e32 v76, v74
	v_mov_b32_e32 v77, v63
	v_pk_fma_f32 v[78:79], v[12:13], s[20:21], v[64:65] op_sel:[0,0,1] op_sel_hi:[1,0,0]
	v_pk_fma_f32 v[64:65], v[12:13], s[20:21], v[64:65] op_sel:[0,0,1] op_sel_hi:[1,0,0] neg_lo:[0,0,1] neg_hi:[0,0,1]
	v_pk_mul_f32 v[66:67], v[20:21], s[22:23] op_sel_hi:[1,0]
	v_pk_add_f32 v[76:77], v[6:7], v[76:77]
	v_mov_b32_e32 v80, v78
	v_mov_b32_e32 v81, v65
	v_pk_add_f32 v[76:77], v[80:81], v[76:77]
	v_pk_fma_f32 v[80:81], v[10:11], s[6:7], v[66:67] op_sel:[0,0,1] op_sel_hi:[1,0,0]
	v_pk_fma_f32 v[66:67], v[10:11], s[6:7], v[66:67] op_sel:[0,0,1] op_sel_hi:[1,0,0] neg_lo:[0,0,1] neg_hi:[0,0,1]
	v_pk_mul_f32 v[68:69], v[22:23], s[0:1] op_sel_hi:[1,0]
	v_mov_b32_e32 v82, v80
	v_mov_b32_e32 v83, v67
	v_pk_add_f32 v[76:77], v[76:77], v[82:83]
	v_pk_fma_f32 v[82:83], v[8:9], s[16:17], v[68:69] op_sel:[0,0,1] op_sel_hi:[1,0,0]
	v_pk_fma_f32 v[68:69], v[8:9], s[16:17], v[68:69] op_sel:[0,0,1] op_sel_hi:[1,0,0] neg_lo:[0,0,1] neg_hi:[0,0,1]
	v_pk_mul_f32 v[70:71], v[52:53], s[28:29] op_sel_hi:[1,0]
	;; [unrolled: 6-line block ×3, first 2 shown]
	v_mov_b32_e32 v86, v84
	v_mov_b32_e32 v87, v71
	v_pk_add_f32 v[76:77], v[86:87], v[76:77]
	v_pk_fma_f32 v[86:87], v[54:55], s[10:11], v[72:73] op_sel:[0,0,1] op_sel_hi:[1,0,0]
	v_pk_fma_f32 v[72:73], v[54:55], s[10:11], v[72:73] op_sel:[0,0,1] op_sel_hi:[1,0,0] neg_lo:[0,0,1] neg_hi:[0,0,1]
	v_mov_b32_e32 v88, v86
	v_mov_b32_e32 v89, v73
	v_pk_add_f32 v[76:77], v[88:89], v[76:77]
	v_pk_mul_f32 v[16:17], v[16:17], s[18:19] op_sel_hi:[1,0]
	ds_write2_b64 v92, v[40:41], v[76:77] offset0:4 offset1:5
	v_pk_mul_f32 v[18:19], v[18:19], s[28:29] op_sel_hi:[1,0]
	v_pk_mul_f32 v[40:41], v[52:53], s[14:15] op_sel_hi:[1,0]
	;; [unrolled: 1-line block ×3, first 2 shown]
	v_pk_fma_f32 v[56:57], v[14:15], s[16:17], v[16:17] op_sel:[0,0,1] op_sel_hi:[1,0,0]
	v_pk_fma_f32 v[14:15], v[14:15], s[16:17], v[16:17] op_sel:[0,0,1] op_sel_hi:[1,0,0] neg_lo:[0,0,1] neg_hi:[0,0,1]
	v_mov_b32_e32 v16, v56
	v_mov_b32_e32 v17, v15
	v_pk_fma_f32 v[76:77], v[12:13], s[26:27], v[18:19] op_sel:[0,0,1] op_sel_hi:[1,0,0]
	v_pk_fma_f32 v[12:13], v[12:13], s[26:27], v[18:19] op_sel:[0,0,1] op_sel_hi:[1,0,0] neg_lo:[0,0,1] neg_hi:[0,0,1]
	v_pk_mul_f32 v[20:21], v[20:21], s[30:31] op_sel_hi:[1,0]
	v_pk_add_f32 v[16:17], v[6:7], v[16:17]
	v_mov_b32_e32 v18, v76
	v_mov_b32_e32 v19, v13
	v_pk_add_f32 v[16:17], v[18:19], v[16:17]
	v_pk_fma_f32 v[18:19], v[10:11], s[12:13], v[20:21] op_sel:[0,0,1] op_sel_hi:[1,0,0]
	v_pk_fma_f32 v[10:11], v[10:11], s[12:13], v[20:21] op_sel:[0,0,1] op_sel_hi:[1,0,0] neg_lo:[0,0,1] neg_hi:[0,0,1]
	v_pk_mul_f32 v[22:23], v[22:23], s[34:35] op_sel_hi:[1,0]
	v_mov_b32_e32 v20, v18
	v_mov_b32_e32 v21, v11
	v_pk_add_f32 v[16:17], v[16:17], v[20:21]
	v_pk_fma_f32 v[20:21], v[8:9], s[6:7], v[22:23] op_sel:[0,0,1] op_sel_hi:[1,0,0]
	v_pk_fma_f32 v[8:9], v[8:9], s[6:7], v[22:23] op_sel:[0,0,1] op_sel_hi:[1,0,0] neg_lo:[0,0,1] neg_hi:[0,0,1]
	v_mov_b32_e32 v15, v57
	v_mov_b32_e32 v22, v20
	;; [unrolled: 1-line block ×3, first 2 shown]
	v_pk_add_f32 v[14:15], v[6:7], v[14:15]
	v_mov_b32_e32 v13, v77
	v_pk_add_f32 v[16:17], v[22:23], v[16:17]
	v_pk_fma_f32 v[22:23], v[50:51], s[10:11], v[40:41] op_sel:[0,0,1] op_sel_hi:[1,0,0]
	v_pk_fma_f32 v[40:41], v[50:51], s[10:11], v[40:41] op_sel:[0,0,1] op_sel_hi:[1,0,0] neg_lo:[0,0,1] neg_hi:[0,0,1]
	v_pk_add_f32 v[12:13], v[12:13], v[14:15]
	v_mov_b32_e32 v11, v19
	v_mov_b32_e32 v50, v22
	;; [unrolled: 1-line block ×3, first 2 shown]
	v_pk_add_f32 v[10:11], v[12:13], v[10:11]
	v_mov_b32_e32 v9, v21
	v_pk_add_f32 v[16:17], v[50:51], v[16:17]
	v_pk_fma_f32 v[50:51], v[54:55], s[20:21], v[52:53] op_sel:[0,0,1] op_sel_hi:[1,0,0]
	v_pk_fma_f32 v[52:53], v[54:55], s[20:21], v[52:53] op_sel:[0,0,1] op_sel_hi:[1,0,0] neg_lo:[0,0,1] neg_hi:[0,0,1]
	v_pk_add_f32 v[8:9], v[8:9], v[10:11]
	v_mov_b32_e32 v41, v23
	v_mov_b32_e32 v54, v50
	;; [unrolled: 1-line block ×3, first 2 shown]
	v_pk_add_f32 v[8:9], v[40:41], v[8:9]
	v_mov_b32_e32 v53, v51
	v_pk_add_f32 v[16:17], v[54:55], v[16:17]
	v_pk_add_f32 v[8:9], v[52:53], v[8:9]
	v_mov_b32_e32 v63, v75
	v_mov_b32_e32 v27, v39
	ds_write2_b64 v92, v[16:17], v[8:9] offset0:6 offset1:7
	v_pk_add_f32 v[8:9], v[6:7], v[62:63]
	v_mov_b32_e32 v65, v79
	v_pk_add_f32 v[6:7], v[6:7], v[26:27]
	v_mov_b32_e32 v29, v43
	;; [unrolled: 2-line block ×10, first 2 shown]
	v_pk_add_f32 v[8:9], v[72:73], v[8:9]
	v_pk_add_f32 v[6:7], v[36:37], v[6:7]
	ds_write2_b64 v92, v[8:9], v[6:7] offset0:8 offset1:9
	ds_write2_b64 v92, v[0:1], v[2:3] offset0:10 offset1:11
	ds_write_b64 v92, v[4:5] offset:96
.LBB0_13:
	s_or_b64 exec, exec, s[2:3]
	v_add_u32_e32 v30, 0x5b, v130
	s_movk_i32 s0, 0x4f
	v_mul_lo_u16_sdwa v36, v30, s0 dst_sel:DWORD dst_unused:UNUSED_PAD src0_sel:BYTE_0 src1_sel:DWORD
	v_lshrrev_b16_e32 v39, 10, v36
	v_add_u32_e32 v6, 0x111, v130
	v_mul_lo_u16_e32 v8, 13, v39
	s_movk_i32 s1, 0x4ec5
	v_add_u32_e32 v7, 0xb6, v130
	v_add_u32_e32 v31, 0x16c, v130
	v_sub_u16_e32 v8, v30, v8
	v_mov_b32_e32 v37, 3
	v_mul_u32_u24_sdwa v10, v6, s1 dst_sel:DWORD dst_unused:UNUSED_PAD src0_sel:WORD_0 src1_sel:DWORD
	v_mul_u32_u24_sdwa v9, v31, s1 dst_sel:DWORD dst_unused:UNUSED_PAD src0_sel:WORD_0 src1_sel:DWORD
	v_lshlrev_b32_sdwa v43, v37, v8 dst_sel:DWORD dst_unused:UNUSED_PAD src0_sel:DWORD src1_sel:BYTE_0
	v_mul_u32_u24_sdwa v8, v7, s1 dst_sel:DWORD dst_unused:UNUSED_PAD src0_sel:WORD_0 src1_sel:DWORD
	v_lshrrev_b32_e32 v45, 18, v10
	v_lshrrev_b32_e32 v42, 18, v9
	;; [unrolled: 1-line block ×3, first 2 shown]
	v_mul_lo_u16_e32 v10, 13, v45
	v_mul_lo_u16_e32 v9, 13, v42
	;; [unrolled: 1-line block ×3, first 2 shown]
	v_sub_u16_e32 v10, v6, v10
	v_sub_u16_e32 v9, v31, v9
	;; [unrolled: 1-line block ×3, first 2 shown]
	v_lshlrev_b32_e32 v46, 3, v10
	s_waitcnt lgkmcnt(0)
	s_barrier
	v_lshlrev_b32_e32 v47, 3, v8
	v_lshlrev_b32_e32 v48, 3, v9
	global_load_dwordx2 v[8:9], v46, s[4:5]
	global_load_dwordx2 v[22:23], v48, s[4:5]
	;; [unrolled: 1-line block ×4, first 2 shown]
	v_mul_lo_u16_sdwa v38, v130, s0 dst_sel:DWORD dst_unused:UNUSED_PAD src0_sel:BYTE_0 src1_sel:DWORD
	v_lshrrev_b16_e32 v49, 10, v38
	v_mul_lo_u16_e32 v10, 13, v49
	v_sub_u16_e32 v10, v130, v10
	v_lshlrev_b32_sdwa v50, v37, v10 dst_sel:DWORD dst_unused:UNUSED_PAD src0_sel:DWORD src1_sel:BYTE_0
	global_load_dwordx2 v[40:41], v50, s[4:5]
	v_lshlrev_b32_e32 v11, 3, v130
	v_add_u32_e32 v10, 0, v60
	v_add3_u32 v32, 0, v11, v60
	v_lshl_add_u32 v33, v7, 3, v10
	v_add_u32_e32 v7, 0x800, v32
	v_add_u32_e32 v14, 0x1000, v32
	s_mov_b32 s1, 0x5040100
	v_add_u32_e32 v35, v10, v11
	v_lshl_add_u32 v34, v6, 3, v10
	v_add_u32_e32 v6, 0x1400, v32
	ds_read2_b64 v[10:13], v7 offset0:108 offset1:199
	ds_read2_b64 v[14:17], v14 offset0:34 offset1:125
	;; [unrolled: 1-line block ×3, first 2 shown]
	s_movk_i32 s0, 0xd0
	v_perm_b32 v44, v45, v44, s1
	v_pk_mul_lo_u16 v44, v44, s0 op_sel_hi:[1,0]
	v_mov_b32_e32 v51, 0
	v_mad_u32_u24 v39, v39, s0, 0
	v_and_b32_e32 v45, 0xfff0, v44
	v_mad_u32_u24 v49, v49, s0, 0
	v_mad_u32_u24 v42, v42, s0, 0
	v_add_u32_sdwa v44, v51, v44 dst_sel:DWORD dst_unused:UNUSED_PAD src0_sel:DWORD src1_sel:WORD_1
	v_add3_u32 v39, v39, v43, v60
	v_add_u32_e32 v43, 0, v45
	v_add3_u32 v52, v49, v50, v60
	v_add3_u32 v53, v44, v46, v60
	;; [unrolled: 1-line block ×4, first 2 shown]
	v_cmp_gt_u32_e64 s[0:1], 39, v130
	s_waitcnt vmcnt(4) lgkmcnt(0)
	v_pk_mul_f32 v[42:43], v[8:9], v[18:19] op_sel:[0,1]
	s_waitcnt vmcnt(3)
	v_pk_mul_f32 v[44:45], v[22:23], v[20:21] op_sel:[0,1]
	s_waitcnt vmcnt(2)
	;; [unrolled: 2-line block ×3, first 2 shown]
	v_pk_mul_f32 v[48:49], v[28:29], v[14:15] op_sel:[0,1]
	v_pk_fma_f32 v[50:51], v[8:9], v[18:19], v[42:43] op_sel:[0,0,1] op_sel_hi:[1,1,0]
	v_pk_fma_f32 v[8:9], v[8:9], v[18:19], v[42:43] op_sel:[0,0,1] op_sel_hi:[1,0,0] neg_lo:[1,0,0] neg_hi:[1,0,0]
	v_pk_fma_f32 v[18:19], v[22:23], v[20:21], v[44:45] op_sel:[0,0,1] op_sel_hi:[1,1,0]
	v_pk_fma_f32 v[20:21], v[22:23], v[20:21], v[44:45] op_sel:[0,0,1] op_sel_hi:[1,0,0] neg_lo:[1,0,0] neg_hi:[1,0,0]
	;; [unrolled: 2-line block ×4, first 2 shown]
	ds_read_b64 v[44:45], v34
	v_mov_b32_e32 v19, v21
	v_mov_b32_e32 v23, v17
	ds_read_b64 v[16:17], v32 offset:728
	v_mov_b32_e32 v43, v15
	ds_read_b64 v[14:15], v35
	ds_read_b64 v[20:21], v33
	v_mov_b32_e32 v51, v9
	s_waitcnt lgkmcnt(3)
	v_pk_add_f32 v[8:9], v[44:45], v[50:51] neg_lo:[0,1] neg_hi:[0,1]
	s_waitcnt lgkmcnt(2)
	v_pk_add_f32 v[28:29], v[16:17], v[42:43] neg_lo:[0,1] neg_hi:[0,1]
	s_waitcnt vmcnt(0)
	v_pk_mul_f32 v[42:43], v[40:41], v[12:13] op_sel:[0,1]
	v_pk_add_f32 v[26:27], v[10:11], v[18:19] neg_lo:[0,1] neg_hi:[0,1]
	s_waitcnt lgkmcnt(0)
	v_pk_add_f32 v[18:19], v[20:21], v[22:23] neg_lo:[0,1] neg_hi:[0,1]
	v_pk_fma_f32 v[22:23], v[44:45], 2.0, v[8:9] op_sel_hi:[1,0,1] neg_lo:[0,0,1] neg_hi:[0,0,1]
	v_pk_fma_f32 v[44:45], v[40:41], v[12:13], v[42:43] op_sel:[0,0,1] op_sel_hi:[1,1,0]
	v_pk_fma_f32 v[12:13], v[40:41], v[12:13], v[42:43] op_sel:[0,0,1] op_sel_hi:[1,0,0] neg_lo:[1,0,0] neg_hi:[1,0,0]
	v_pk_fma_f32 v[10:11], v[10:11], 2.0, v[26:27] op_sel_hi:[1,0,1] neg_lo:[0,0,1] neg_hi:[0,0,1]
	v_mov_b32_e32 v45, v13
	v_pk_add_f32 v[12:13], v[14:15], v[44:45] neg_lo:[0,1] neg_hi:[0,1]
	v_pk_fma_f32 v[20:21], v[20:21], 2.0, v[18:19] op_sel_hi:[1,0,1] neg_lo:[0,0,1] neg_hi:[0,0,1]
	v_pk_fma_f32 v[14:15], v[14:15], 2.0, v[12:13] op_sel_hi:[1,0,1] neg_lo:[0,0,1] neg_hi:[0,0,1]
	;; [unrolled: 1-line block ×3, first 2 shown]
	s_barrier
	ds_write2_b64 v52, v[14:15], v[12:13] offset1:13
	ds_write2_b64 v39, v[16:17], v[28:29] offset1:13
	;; [unrolled: 1-line block ×5, first 2 shown]
	v_add_u32_e32 v12, 0x400, v32
	v_add_u32_e32 v39, 0xc00, v32
	s_waitcnt lgkmcnt(0)
	s_barrier
	ds_read_b64 v[28:29], v35
	ds_read2_b64 v[12:15], v12 offset0:2 offset1:132
	ds_read2_b64 v[20:23], v39 offset0:6 offset1:136
	;; [unrolled: 1-line block ×3, first 2 shown]
	s_and_saveexec_b64 s[2:3], s[0:1]
	s_cbranch_execz .LBB0_15
; %bb.14:
	ds_read2_b64 v[8:11], v32 offset0:91 offset1:221
	ds_read2_b32 v[26:27], v7 offset0:190 offset1:191
	ds_read2_b64 v[0:3], v39 offset0:97 offset1:227
	ds_read2_b64 v[4:7], v6 offset0:101 offset1:231
.LBB0_15:
	s_or_b64 exec, exec, s[2:3]
	v_lshrrev_b16_e32 v39, 11, v38
	v_mul_lo_u16_e32 v38, 26, v39
	v_sub_u16_e32 v57, v130, v38
	v_mov_b32_e32 v38, 6
	v_mul_u32_u24_sdwa v40, v57, v38 dst_sel:DWORD dst_unused:UNUSED_PAD src0_sel:BYTE_0 src1_sel:DWORD
	v_lshlrev_b32_e32 v52, 3, v40
	global_load_dwordx4 v[40:43], v52, s[4:5] offset:120
	global_load_dwordx4 v[44:47], v52, s[4:5] offset:104
	;; [unrolled: 1-line block ×3, first 2 shown]
	s_waitcnt lgkmcnt(1)
	v_mov_b32_e32 v52, v21
	v_mov_b32_e32 v53, v20
	;; [unrolled: 1-line block ×4, first 2 shown]
	s_movk_i32 s3, 0x5b0
	v_mov_b32_e32 v56, v13
	v_mov_b32_e32 v58, v15
	s_waitcnt lgkmcnt(0)
	v_mov_b32_e32 v62, v17
	v_mov_b32_e32 v64, v19
	v_mad_u32_u24 v21, v39, s3, 0
	v_lshlrev_b32_sdwa v23, v37, v57 dst_sel:DWORD dst_unused:UNUSED_PAD src0_sel:DWORD src1_sel:BYTE_0
	v_add3_u32 v37, v21, v23, v60
	s_mov_b32 s6, 0x3f08b237
	s_mov_b32 s16, 0x3d64c772
	;; [unrolled: 1-line block ×12, first 2 shown]
	s_barrier
	s_waitcnt vmcnt(2)
	v_pk_mul_f32 v[68:69], v[40:41], v[52:53]
	v_mov_b32_e32 v66, v41
	v_mov_b32_e32 v68, v43
	v_pk_mul_f32 v[70:71], v[42:43], v[54:55]
	s_waitcnt vmcnt(1)
	v_pk_mul_f32 v[72:73], v[44:45], v[12:13] op_sel_hi:[1,0]
	v_pk_mul_f32 v[74:75], v[46:47], v[14:15] op_sel_hi:[1,0]
	s_waitcnt vmcnt(0)
	v_pk_mul_f32 v[76:77], v[48:49], v[16:17] op_sel_hi:[1,0]
	v_pk_mul_f32 v[78:79], v[50:51], v[18:19] op_sel_hi:[1,0]
	;; [unrolled: 1-line block ×4, first 2 shown]
	v_pk_mul_f32 v[66:67], v[66:67], v[52:53]
	v_mov_b32_e32 v70, v69
	v_pk_mul_f32 v[68:69], v[68:69], v[54:55]
	v_pk_fma_f32 v[56:57], v[44:45], v[56:57], v[72:73] op_sel:[0,0,1] op_sel_hi:[1,1,0] neg_lo:[0,0,1] neg_hi:[0,0,1]
	v_pk_fma_f32 v[12:13], v[44:45], v[12:13], v[72:73] op_sel:[0,1,1] op_sel_hi:[1,1,0]
	v_pk_fma_f32 v[44:45], v[46:47], v[58:59], v[74:75] op_sel:[0,0,1] op_sel_hi:[1,1,0] neg_lo:[0,0,1] neg_hi:[0,0,1]
	v_pk_fma_f32 v[14:15], v[46:47], v[14:15], v[74:75] op_sel:[0,1,1] op_sel_hi:[1,1,0]
	;; [unrolled: 2-line block ×3, first 2 shown]
	v_pk_fma_f32 v[48:49], v[50:51], v[64:65], v[78:79] op_sel:[0,0,1] op_sel_hi:[1,1,0] neg_lo:[0,0,1] neg_hi:[0,0,1]
	v_mov_b32_e32 v80, v71
	v_pk_fma_f32 v[18:19], v[50:51], v[18:19], v[78:79] op_sel:[0,1,1] op_sel_hi:[1,1,0]
	v_mov_b32_e32 v23, v56
	v_mov_b32_e32 v69, v48
	;; [unrolled: 1-line block ×4, first 2 shown]
	v_pk_fma_f32 v[40:41], v[40:41], v[52:53], v[70:71] neg_lo:[0,0,1] neg_hi:[0,0,1]
	v_pk_fma_f32 v[42:43], v[42:43], v[54:55], v[80:81] neg_lo:[0,0,1] neg_hi:[0,0,1]
	v_mov_b32_e32 v57, v13
	v_mov_b32_e32 v45, v15
	;; [unrolled: 1-line block ×4, first 2 shown]
	v_pk_add_f32 v[22:23], v[22:23], v[68:69]
	v_pk_add_f32 v[20:21], v[20:21], v[66:67]
	;; [unrolled: 1-line block ×4, first 2 shown]
	v_mov_b32_e32 v43, v22
	v_mov_b32_e32 v41, v20
	v_pk_add_f32 v[14:15], v[56:57], v[48:49] neg_lo:[0,1] neg_hi:[0,1]
	v_pk_add_f32 v[18:19], v[44:45], v[46:47] neg_lo:[0,1] neg_hi:[0,1]
	v_mov_b32_e32 v45, v40
	v_mov_b32_e32 v47, v42
	;; [unrolled: 1-line block ×4, first 2 shown]
	v_pk_add_f32 v[40:41], v[42:43], v[40:41] neg_lo:[0,1] neg_hi:[0,1]
	v_mov_b32_e32 v52, v14
	v_mov_b32_e32 v55, v19
	v_pk_add_f32 v[56:57], v[20:21], v[22:23]
	v_pk_add_f32 v[42:43], v[44:45], v[46:47]
	v_mov_b32_e32 v53, v41
	v_mov_b32_e32 v54, v40
	v_mov_b32_e32 v49, v15
	v_mov_b32_e32 v50, v18
	v_mov_b32_e32 v58, v17
	v_mov_b32_e32 v22, v56
	v_mov_b32_e32 v48, v40
	v_mov_b32_e32 v51, v41
	v_mov_b32_e32 v59, v43
	v_pk_add_f32 v[46:47], v[52:53], v[54:55] neg_lo:[0,1] neg_hi:[0,1]
	v_mov_b32_e32 v52, v13
	v_mov_b32_e32 v53, v43
	;; [unrolled: 1-line block ×3, first 2 shown]
	v_pk_add_f32 v[44:45], v[48:49], v[50:51] neg_lo:[0,1] neg_hi:[0,1]
	v_pk_add_f32 v[48:49], v[22:23], v[58:59] neg_lo:[0,1] neg_hi:[0,1]
	;; [unrolled: 1-line block ×3, first 2 shown]
	v_pk_add_f32 v[40:41], v[40:41], v[18:19]
	v_pk_mul_f32 v[44:45], v[44:45], s[6:7]
	v_pk_mul_f32 v[50:51], v[46:47], s[10:11]
	v_pk_add_f32 v[42:43], v[42:43], v[56:57]
	v_pk_mul_f32 v[48:49], v[48:49], s[16:17]
	v_pk_mul_f32 v[54:55], v[52:53], s[20:21]
	v_mov_b32_e32 v20, v17
	v_mov_b32_e32 v22, v13
	v_pk_add_f32 v[40:41], v[40:41], v[14:15]
	v_pk_add_f32 v[28:29], v[42:43], v[28:29]
	v_pk_fma_f32 v[52:53], v[52:53], s[20:21], v[48:49]
	v_pk_fma_f32 v[46:47], v[46:47], s[10:11], v[44:45]
	v_pk_add_f32 v[14:15], v[18:19], v[14:15] neg_lo:[0,1] neg_hi:[0,1]
	v_pk_add_f32 v[12:13], v[20:21], v[22:23] neg_lo:[0,1] neg_hi:[0,1]
	v_mov_b32_e32 v16, v54
	v_mov_b32_e32 v17, v49
	;; [unrolled: 1-line block ×6, first 2 shown]
	v_pk_fma_f32 v[42:43], v[42:43], s[18:19], v[28:29] op_sel_hi:[1,0,1]
	v_pk_fma_f32 v[16:17], v[12:13], s[14:15], v[16:17] op_sel_hi:[1,0,1] neg_lo:[1,0,1] neg_hi:[1,0,1]
	v_pk_fma_f32 v[18:19], v[14:15], s[12:13], v[18:19] op_sel_hi:[1,0,1] neg_lo:[1,0,1] neg_hi:[1,0,1]
	;; [unrolled: 1-line block ×4, first 2 shown]
	v_pk_add_f32 v[52:53], v[52:53], v[42:43]
	v_pk_fma_f32 v[46:47], v[40:41], s[2:3], v[46:47] op_sel_hi:[1,0,1]
	v_pk_add_f32 v[16:17], v[16:17], v[42:43]
	v_pk_fma_f32 v[18:19], v[40:41], s[2:3], v[18:19] op_sel_hi:[1,0,1]
	;; [unrolled: 2-line block ×3, first 2 shown]
	v_pk_add_f32 v[56:57], v[52:53], v[46:47]
	v_pk_add_f32 v[46:47], v[52:53], v[46:47] neg_lo:[0,1] neg_hi:[0,1]
	v_pk_add_f32 v[20:21], v[16:17], v[18:19]
	v_pk_add_f32 v[16:17], v[16:17], v[18:19] neg_lo:[0,1] neg_hi:[0,1]
	v_pk_add_f32 v[22:23], v[12:13], v[14:15] neg_lo:[0,1] neg_hi:[0,1]
	v_pk_add_f32 v[12:13], v[12:13], v[14:15]
	v_mov_b32_e32 v52, v56
	v_mov_b32_e32 v53, v47
	v_mov_b32_e32 v18, v20
	v_mov_b32_e32 v19, v17
	v_mov_b32_e32 v14, v22
	v_mov_b32_e32 v15, v13
	v_mov_b32_e32 v13, v23
	v_mov_b32_e32 v17, v21
	v_mov_b32_e32 v47, v57
	ds_write2_b64 v37, v[28:29], v[52:53] offset1:26
	ds_write2_b64 v37, v[18:19], v[14:15] offset0:52 offset1:78
	ds_write2_b64 v37, v[12:13], v[16:17] offset0:104 offset1:130
	ds_write_b64 v37, v[46:47] offset:1248
	s_and_saveexec_b64 s[22:23], s[0:1]
	s_cbranch_execz .LBB0_17
; %bb.16:
	v_lshrrev_b16_e32 v29, 11, v36
	v_mul_lo_u16_e32 v12, 26, v29
	v_sub_u16_e32 v37, v30, v12
	v_mul_u32_u24_sdwa v12, v37, v38 dst_sel:DWORD dst_unused:UNUSED_PAD src0_sel:BYTE_0 src1_sel:DWORD
	v_lshlrev_b32_e32 v28, 3, v12
	global_load_dwordx4 v[12:15], v28, s[4:5] offset:120
	global_load_dwordx4 v[16:19], v28, s[4:5] offset:104
	;; [unrolled: 1-line block ×3, first 2 shown]
	v_mov_b32_e32 v39, 3
	v_mad_u32_u24 v29, v29, s3, 0
	v_lshlrev_b32_sdwa v37, v39, v37 dst_sel:DWORD dst_unused:UNUSED_PAD src0_sel:DWORD src1_sel:BYTE_0
	v_mov_b32_e32 v28, v11
	v_mov_b32_e32 v36, v11
	;; [unrolled: 1-line block ×8, first 2 shown]
	v_add3_u32 v41, v29, v37, v60
	s_waitcnt vmcnt(2)
	v_mov_b32_e32 v50, v15
	v_mov_b32_e32 v51, v14
	s_waitcnt vmcnt(1)
	v_pk_mul_f32 v[10:11], v[10:11], v[16:17] op_sel_hi:[0,1]
	s_waitcnt vmcnt(0)
	v_pk_mul_f32 v[6:7], v[6:7], v[22:23] op_sel_hi:[0,1]
	v_pk_mul_f32 v[26:27], v[26:27], v[18:19] op_sel_hi:[0,1]
	;; [unrolled: 1-line block ×3, first 2 shown]
	v_pk_mul_f32 v[14:15], v[2:3], v[14:15]
	v_pk_mul_f32 v[52:53], v[0:1], v[12:13]
	v_pk_mul_f32 v[44:45], v[44:45], v[12:13] op_sel:[0,1] op_sel_hi:[1,0]
	v_pk_mul_f32 v[56:57], v[0:1], v[12:13] op_sel:[0,1] op_sel_hi:[1,0]
	v_pk_mul_f32 v[42:43], v[42:43], v[50:51]
	v_pk_mul_f32 v[58:59], v[2:3], v[50:51]
	v_pk_fma_f32 v[38:39], v[38:39], v[22:23], v[6:7] op_sel:[0,0,1] op_sel_hi:[1,1,0] neg_lo:[0,0,1] neg_hi:[0,0,1]
	v_pk_fma_f32 v[6:7], v[40:41], v[22:23], v[6:7] op_sel:[0,0,1] op_sel_hi:[0,1,0]
	v_pk_fma_f32 v[22:23], v[28:29], v[16:17], v[10:11] op_sel:[0,0,1] op_sel_hi:[1,1,0] neg_lo:[0,0,1] neg_hi:[0,0,1]
	v_pk_fma_f32 v[10:11], v[36:37], v[16:17], v[10:11] op_sel:[0,0,1] op_sel_hi:[0,1,0]
	;; [unrolled: 2-line block ×4, first 2 shown]
	v_mov_b32_e32 v56, v57
	v_mov_b32_e32 v4, v59
	v_mov_b32_e32 v39, v7
	v_mov_b32_e32 v23, v11
	v_mov_b32_e32 v17, v5
	v_mov_b32_e32 v21, v19
	v_mov_b32_e32 v15, v22
	v_mov_b32_e32 v43, v38
	v_mov_b32_e32 v53, v20
	v_mov_b32_e32 v45, v16
	v_pk_fma_f32 v[0:1], v[0:1], v[12:13], v[56:57] op_sel:[0,1,0] op_sel_hi:[1,0,1] neg_lo:[1,0,0] neg_hi:[1,0,0]
	v_pk_fma_f32 v[2:3], v[2:3], v[50:51], v[4:5] neg_lo:[1,0,0] neg_hi:[1,0,0]
	v_pk_add_f32 v[4:5], v[22:23], v[38:39]
	v_pk_add_f32 v[6:7], v[20:21], v[16:17]
	v_pk_add_f32 v[12:13], v[20:21], v[16:17] neg_lo:[0,1] neg_hi:[0,1]
	v_pk_add_f32 v[14:15], v[14:15], v[42:43]
	v_pk_add_f32 v[16:17], v[52:53], v[44:45]
	v_mov_b32_e32 v19, v0
	v_mov_b32_e32 v3, v14
	;; [unrolled: 1-line block ×6, first 2 shown]
	v_pk_add_f32 v[10:11], v[22:23], v[38:39] neg_lo:[0,1] neg_hi:[0,1]
	v_pk_add_f32 v[36:37], v[16:17], v[14:15]
	v_pk_add_f32 v[0:1], v[2:3], v[0:1] neg_lo:[0,1] neg_hi:[0,1]
	v_pk_add_f32 v[2:3], v[18:19], v[28:29]
	v_mov_b32_e32 v20, v10
	v_mov_b32_e32 v23, v13
	;; [unrolled: 1-line block ×4, first 2 shown]
	v_pk_add_f32 v[28:29], v[2:3], v[36:37]
	v_mov_b32_e32 v2, v5
	v_mov_b32_e32 v37, v17
	;; [unrolled: 1-line block ×3, first 2 shown]
	v_pk_add_f32 v[18:19], v[0:1], v[12:13]
	v_mov_b32_e32 v26, v0
	v_mov_b32_e32 v0, v12
	v_pk_add_f32 v[20:21], v[20:21], v[22:23] neg_lo:[0,1] neg_hi:[0,1]
	v_pk_add_f32 v[22:23], v[2:3], v[36:37] neg_lo:[0,1] neg_hi:[0,1]
	v_mov_b32_e32 v37, v15
	v_mov_b32_e32 v2, v7
	v_pk_add_f32 v[0:1], v[26:27], v[0:1] neg_lo:[0,1] neg_hi:[0,1]
	v_pk_add_f32 v[2:3], v[36:37], v[2:3] neg_lo:[0,1] neg_hi:[0,1]
	v_pk_add_f32 v[8:9], v[8:9], v[28:29]
	v_pk_mul_f32 v[0:1], v[0:1], s[6:7]
	v_pk_mul_f32 v[2:3], v[2:3], s[16:17]
	v_pk_add_f32 v[18:19], v[18:19], v[10:11]
	v_pk_mul_f32 v[26:27], v[20:21], s[10:11]
	v_pk_mul_f32 v[38:39], v[22:23], s[20:21]
	v_pk_fma_f32 v[28:29], v[28:29], s[18:19], v[8:9] op_sel_hi:[1,0,1]
	v_pk_fma_f32 v[20:21], v[20:21], s[10:11], v[0:1]
	v_pk_fma_f32 v[22:23], v[22:23], s[20:21], v[2:3]
	v_pk_fma_f32 v[20:21], v[18:19], s[2:3], v[20:21] op_sel_hi:[1,0,1]
	v_pk_add_f32 v[22:23], v[22:23], v[28:29]
	v_mov_b32_e32 v16, v7
	v_pk_add_f32 v[36:37], v[22:23], v[20:21]
	v_pk_add_f32 v[20:21], v[22:23], v[20:21] neg_lo:[0,1] neg_hi:[0,1]
	v_mov_b32_e32 v22, v36
	v_mov_b32_e32 v23, v21
	;; [unrolled: 1-line block ×3, first 2 shown]
	ds_write2_b64 v41, v[8:9], v[22:23] offset1:26
	v_pk_add_f32 v[8:9], v[12:13], v[10:11] neg_lo:[0,1] neg_hi:[0,1]
	v_mov_b32_e32 v10, v26
	v_mov_b32_e32 v11, v1
	v_pk_add_f32 v[4:5], v[16:17], v[14:15] neg_lo:[0,1] neg_hi:[0,1]
	v_mov_b32_e32 v6, v38
	v_mov_b32_e32 v7, v3
	;; [unrolled: 1-line block ×4, first 2 shown]
	v_pk_fma_f32 v[10:11], v[8:9], s[12:13], v[10:11] op_sel_hi:[1,0,1] neg_lo:[1,0,1] neg_hi:[1,0,1]
	v_pk_fma_f32 v[6:7], v[4:5], s[14:15], v[6:7] op_sel_hi:[1,0,1] neg_lo:[1,0,1] neg_hi:[1,0,1]
	;; [unrolled: 1-line block ×4, first 2 shown]
	v_pk_fma_f32 v[10:11], v[18:19], s[2:3], v[10:11] op_sel_hi:[1,0,1]
	v_pk_add_f32 v[6:7], v[6:7], v[28:29]
	v_pk_fma_f32 v[0:1], v[18:19], s[2:3], v[0:1] op_sel_hi:[1,0,1]
	v_pk_add_f32 v[2:3], v[2:3], v[28:29]
	v_pk_add_f32 v[12:13], v[6:7], v[10:11]
	v_pk_add_f32 v[6:7], v[6:7], v[10:11] neg_lo:[0,1] neg_hi:[0,1]
	v_pk_add_f32 v[4:5], v[2:3], v[0:1] neg_lo:[0,1] neg_hi:[0,1]
	v_pk_add_f32 v[0:1], v[2:3], v[0:1]
	v_mov_b32_e32 v10, v12
	v_mov_b32_e32 v11, v7
	;; [unrolled: 1-line block ×7, first 2 shown]
	ds_write2_b64 v41, v[10:11], v[2:3] offset0:52 offset1:78
	ds_write2_b64 v41, v[0:1], v[6:7] offset0:104 offset1:130
	ds_write_b64 v41, v[20:21] offset:1248
.LBB0_17:
	s_or_b64 exec, exec, s[22:23]
	s_waitcnt lgkmcnt(0)
	s_barrier
	s_and_saveexec_b64 s[0:1], vcc
	s_cbranch_execz .LBB0_19
; %bb.18:
	v_lshlrev_b32_e32 v0, 2, v30
	v_mov_b32_e32 v1, 0
	v_lshl_add_u64 v[36:37], v[0:1], 3, s[4:5]
	v_lshlrev_b32_e32 v0, 2, v130
	v_lshl_add_u64 v[8:9], v[0:1], 3, s[4:5]
	global_load_dwordx4 v[0:3], v[8:9], off offset:1352
	global_load_dwordx4 v[4:7], v[8:9], off offset:1368
	v_add_u32_e32 v8, 0x800, v32
	v_add_u32_e32 v12, 0x1400, v32
	;; [unrolled: 1-line block ×3, first 2 shown]
	ds_read_b64 v[42:43], v35
	ds_read_b64 v[34:35], v34
	;; [unrolled: 1-line block ×3, first 2 shown]
	ds_read_b64 v[32:33], v32 offset:728
	ds_read2_b64 v[8:11], v8 offset0:108 offset1:199
	ds_read2_b64 v[12:15], v12 offset0:88 offset1:179
	;; [unrolled: 1-line block ×3, first 2 shown]
	global_load_dwordx4 v[20:23], v[36:37], off offset:1368
	global_load_dwordx4 v[26:29], v[36:37], off offset:1352
	v_mad_u64_u32 v[38:39], s[0:1], s8, v130, 0
	v_add_u32_e32 v47, 0xb6, v130
	v_mad_u64_u32 v[40:41], s[0:1], s8, v31, 0
	v_add_u32_e32 v57, 0x222, v130
	v_add_u32_e32 v59, 0x2d8, v130
	v_mov_b32_e32 v46, v39
	v_mad_u64_u32 v[48:49], s[6:7], s8, v47, 0
	v_mov_b32_e32 v50, v41
	v_mad_u64_u32 v[52:53], s[6:7], s8, v57, 0
	v_mad_u64_u32 v[54:55], s[6:7], s8, v59, 0
	;; [unrolled: 1-line block ×3, first 2 shown]
	v_mov_b32_e32 v46, v49
	v_mad_u64_u32 v[50:51], s[6:7], s9, v31, v[50:51]
	v_mov_b32_e32 v56, v53
	v_mov_b32_e32 v58, v55
	;; [unrolled: 1-line block ×3, first 2 shown]
	v_mad_u64_u32 v[36:37], s[6:7], s9, v47, v[46:47]
	v_mov_b32_e32 v41, v50
	v_mad_u64_u32 v[46:47], s[6:7], s9, v57, v[56:57]
	v_mad_u64_u32 v[50:51], s[6:7], s9, v59, v[58:59]
	v_mov_b32_e32 v49, v36
	v_mov_b32_e32 v53, v46
	;; [unrolled: 1-line block ×3, first 2 shown]
	v_lshl_add_u64 v[36:37], v[40:41], 3, v[24:25]
	v_lshl_add_u64 v[40:41], v[48:49], 3, v[24:25]
	;; [unrolled: 1-line block ×4, first 2 shown]
	s_mov_b32 s2, 0x3f737871
	s_mov_b32 s4, 0x3f167918
	s_movk_i32 s1, 0x2d8
	s_mov_b32 s0, 0x3e9e377a
	v_lshl_add_u64 v[38:39], v[38:39], 3, v[24:25]
	s_waitcnt vmcnt(3) lgkmcnt(4)
	v_pk_mul_f32 v[50:51], v[0:1], v[44:45] op_sel:[0,1]
	s_waitcnt vmcnt(2) lgkmcnt(1)
	v_pk_mul_f32 v[52:53], v[6:7], v[12:13] op_sel:[0,1]
	v_pk_mul_f32 v[54:55], v[2:3], v[8:9] op_sel:[0,1]
	s_waitcnt lgkmcnt(0)
	v_pk_mul_f32 v[56:57], v[4:5], v[16:17] op_sel:[0,1]
	v_pk_fma_f32 v[58:59], v[0:1], v[44:45], v[50:51] op_sel:[0,0,1] op_sel_hi:[1,1,0]
	v_pk_fma_f32 v[0:1], v[0:1], v[44:45], v[50:51] op_sel:[0,0,1] op_sel_hi:[1,0,0] neg_lo:[1,0,0] neg_hi:[1,0,0]
	v_pk_fma_f32 v[44:45], v[6:7], v[12:13], v[52:53] op_sel:[0,0,1] op_sel_hi:[1,1,0]
	v_pk_fma_f32 v[6:7], v[6:7], v[12:13], v[52:53] op_sel:[0,0,1] op_sel_hi:[1,0,0] neg_lo:[1,0,0] neg_hi:[1,0,0]
	;; [unrolled: 2-line block ×4, first 2 shown]
	v_mov_b32_e32 v59, v1
	v_mov_b32_e32 v45, v7
	;; [unrolled: 1-line block ×4, first 2 shown]
	v_pk_add_f32 v[0:1], v[58:59], v[12:13] neg_lo:[0,1] neg_hi:[0,1]
	v_pk_add_f32 v[2:3], v[44:45], v[8:9] neg_lo:[0,1] neg_hi:[0,1]
	v_pk_add_f32 v[4:5], v[12:13], v[8:9]
	v_pk_add_f32 v[6:7], v[58:59], v[44:45] neg_lo:[0,1] neg_hi:[0,1]
	v_pk_add_f32 v[0:1], v[0:1], v[2:3]
	v_pk_fma_f32 v[2:3], v[4:5], 0.5, v[42:43] op_sel_hi:[1,0,1] neg_lo:[1,0,0] neg_hi:[1,0,0]
	v_pk_add_f32 v[16:17], v[12:13], v[8:9] neg_lo:[0,1] neg_hi:[0,1]
	v_pk_add_f32 v[50:51], v[58:59], v[42:43]
	v_pk_fma_f32 v[4:5], v[6:7], s[2:3], v[2:3] op_sel:[1,0,0] op_sel_hi:[0,0,1]
	v_pk_fma_f32 v[2:3], v[6:7], s[2:3], v[2:3] op_sel:[1,0,0] op_sel_hi:[0,0,1] neg_lo:[1,0,0] neg_hi:[1,0,0]
	v_pk_fma_f32 v[2:3], v[16:17], s[4:5], v[2:3] op_sel:[1,0,0] op_sel_hi:[0,0,1] neg_lo:[1,0,0] neg_hi:[1,0,0]
	v_pk_fma_f32 v[4:5], v[16:17], s[4:5], v[4:5] op_sel:[1,0,0] op_sel_hi:[0,0,1]
	v_pk_add_f32 v[50:51], v[12:13], v[50:51]
	v_mov_b32_e32 v52, v4
	v_mov_b32_e32 v53, v3
	v_pk_add_f32 v[50:51], v[50:51], v[8:9]
	v_mov_b32_e32 v3, v5
	v_pk_fma_f32 v[52:53], v[0:1], s[0:1], v[52:53] op_sel_hi:[1,0,1]
	v_pk_add_f32 v[50:51], v[44:45], v[50:51]
	v_pk_fma_f32 v[0:1], v[0:1], s[0:1], v[2:3] op_sel_hi:[1,0,1]
	global_store_dwordx2 v[38:39], v[50:51], off
	global_store_dwordx2 v[40:41], v[0:1], off
	v_pk_add_f32 v[0:1], v[12:13], v[58:59] neg_lo:[0,1] neg_hi:[0,1]
	v_pk_add_f32 v[2:3], v[8:9], v[44:45] neg_lo:[0,1] neg_hi:[0,1]
	s_nop 0
	v_pk_add_f32 v[0:1], v[0:1], v[2:3]
	v_pk_add_f32 v[2:3], v[58:59], v[44:45]
	s_nop 0
	v_pk_fma_f32 v[2:3], v[2:3], 0.5, v[42:43] op_sel_hi:[1,0,1] neg_lo:[1,0,0] neg_hi:[1,0,0]
	s_nop 0
	v_pk_fma_f32 v[4:5], v[16:17], s[2:3], v[2:3] op_sel:[1,0,0] op_sel_hi:[0,0,1] neg_lo:[1,0,0] neg_hi:[1,0,0]
	v_pk_fma_f32 v[2:3], v[16:17], s[2:3], v[2:3] op_sel:[1,0,0] op_sel_hi:[0,0,1]
	v_pk_fma_f32 v[2:3], v[6:7], s[4:5], v[2:3] op_sel:[1,0,0] op_sel_hi:[0,0,1] neg_lo:[1,0,0] neg_hi:[1,0,0]
	v_pk_fma_f32 v[4:5], v[6:7], s[4:5], v[4:5] op_sel:[1,0,0] op_sel_hi:[0,0,1]
	v_mov_b32_e32 v6, v4
	v_mov_b32_e32 v7, v3
	;; [unrolled: 1-line block ×3, first 2 shown]
	v_pk_fma_f32 v[6:7], v[0:1], s[0:1], v[6:7] op_sel_hi:[1,0,1]
	v_pk_fma_f32 v[0:1], v[0:1], s[0:1], v[2:3] op_sel_hi:[1,0,1]
	global_store_dwordx2 v[36:37], v[0:1], off
	global_store_dwordx2 v[46:47], v[6:7], off
	;; [unrolled: 1-line block ×3, first 2 shown]
	v_lshrrev_b32_e32 v0, 1, v30
	s_mov_b32 s3, 0xb40b40b5
	v_mul_hi_u32 v0, v0, s3
	v_lshrrev_b32_e32 v0, 6, v0
	v_mad_u32_u24 v12, v0, s1, v30
	v_mad_u64_u32 v[0:1], s[6:7], s8, v12, 0
	v_mov_b32_e32 v2, v1
	v_mad_u64_u32 v[2:3], s[6:7], s9, v12, v[2:3]
	v_add_u32_e32 v5, 0xb6, v12
	v_mov_b32_e32 v1, v2
	v_mad_u64_u32 v[2:3], s[6:7], s8, v5, 0
	v_mov_b32_e32 v4, v3
	v_mad_u64_u32 v[4:5], s[6:7], s9, v5, v[4:5]
	v_add_u32_e32 v7, 0x16c, v12
	v_mov_b32_e32 v3, v4
	;; [unrolled: 5-line block ×4, first 2 shown]
	v_mad_u64_u32 v[8:9], s[6:7], s8, v13, 0
	v_mov_b32_e32 v12, v9
	v_mad_u64_u32 v[12:13], s[6:7], s9, v13, v[12:13]
	v_mov_b32_e32 v9, v12
	s_waitcnt vmcnt(5)
	v_pk_mul_f32 v[12:13], v[26:27], v[34:35] op_sel:[0,1]
	v_lshl_add_u64 v[0:1], v[0:1], 3, v[24:25]
	v_pk_fma_f32 v[16:17], v[26:27], v[34:35], v[12:13] op_sel:[0,0,1] op_sel_hi:[1,1,0]
	v_pk_fma_f32 v[12:13], v[26:27], v[34:35], v[12:13] op_sel:[0,0,1] op_sel_hi:[1,0,0] neg_lo:[1,0,0] neg_hi:[1,0,0]
	v_lshl_add_u64 v[2:3], v[2:3], 3, v[24:25]
	v_mov_b32_e32 v12, v23
	v_mov_b32_e32 v17, v13
	v_pk_mul_f32 v[12:13], v[12:13], v[14:15] op_sel_hi:[0,1]
	v_lshl_add_u64 v[4:5], v[4:5], 3, v[24:25]
	v_lshl_add_u64 v[6:7], v[6:7], 3, v[24:25]
	;; [unrolled: 1-line block ×3, first 2 shown]
	v_pk_fma_f32 v[24:25], v[22:23], v[14:15], v[12:13] op_sel:[0,0,1] op_sel_hi:[1,1,0]
	v_pk_fma_f32 v[12:13], v[22:23], v[14:15], v[12:13] op_sel:[0,0,1] op_sel_hi:[0,1,0] neg_lo:[0,0,1] neg_hi:[0,0,1]
	v_mov_b32_e32 v12, v29
	v_mov_b32_e32 v25, v13
	v_pk_mul_f32 v[12:13], v[12:13], v[10:11] op_sel_hi:[0,1]
	v_pk_fma_f32 v[14:15], v[28:29], v[10:11], v[12:13] op_sel:[0,0,1] op_sel_hi:[1,1,0]
	v_pk_fma_f32 v[10:11], v[28:29], v[10:11], v[12:13] op_sel:[0,0,1] op_sel_hi:[0,1,0] neg_lo:[0,0,1] neg_hi:[0,0,1]
	v_mov_b32_e32 v15, v11
	v_pk_mul_f32 v[10:11], v[20:21], v[18:19] op_sel:[1,0]
	v_pk_add_f32 v[30:31], v[16:17], v[32:33]
	v_pk_fma_f32 v[12:13], v[20:21], v[18:19], v[10:11] op_sel:[0,0,1] op_sel_hi:[1,1,0]
	v_pk_fma_f32 v[10:11], v[20:21], v[18:19], v[10:11] op_sel:[0,0,1] op_sel_hi:[0,1,0] neg_lo:[0,0,1] neg_hi:[0,0,1]
	v_mov_b32_e32 v13, v11
	v_pk_add_f32 v[10:11], v[16:17], v[14:15] neg_lo:[0,1] neg_hi:[0,1]
	v_pk_add_f32 v[18:19], v[24:25], v[12:13] neg_lo:[0,1] neg_hi:[0,1]
	;; [unrolled: 1-line block ×3, first 2 shown]
	v_pk_add_f32 v[10:11], v[10:11], v[18:19]
	v_pk_add_f32 v[18:19], v[14:15], v[12:13]
	v_pk_add_f32 v[26:27], v[14:15], v[12:13] neg_lo:[0,1] neg_hi:[0,1]
	v_pk_fma_f32 v[18:19], v[18:19], 0.5, v[32:33] op_sel_hi:[1,0,1] neg_lo:[1,0,0] neg_hi:[1,0,0]
	v_pk_add_f32 v[30:31], v[14:15], v[30:31]
	v_pk_fma_f32 v[22:23], v[20:21], s[2:3], v[18:19] op_sel:[1,0,0] op_sel_hi:[0,0,1]
	v_pk_fma_f32 v[18:19], v[20:21], s[2:3], v[18:19] op_sel:[1,0,0] op_sel_hi:[0,0,1] neg_lo:[1,0,0] neg_hi:[1,0,0]
	v_pk_fma_f32 v[18:19], v[26:27], s[4:5], v[18:19] op_sel:[1,0,0] op_sel_hi:[0,0,1] neg_lo:[1,0,0] neg_hi:[1,0,0]
	v_pk_fma_f32 v[22:23], v[26:27], s[4:5], v[22:23] op_sel:[1,0,0] op_sel_hi:[0,0,1]
	v_pk_add_f32 v[30:31], v[12:13], v[30:31]
	v_mov_b32_e32 v29, v19
	v_pk_add_f32 v[30:31], v[24:25], v[30:31]
	v_mov_b32_e32 v19, v23
	global_store_dwordx2 v[0:1], v[30:31], off
	v_pk_fma_f32 v[0:1], v[10:11], s[0:1], v[18:19] op_sel_hi:[1,0,1]
	global_store_dwordx2 v[2:3], v[0:1], off
	v_pk_add_f32 v[0:1], v[14:15], v[16:17] neg_lo:[0,1] neg_hi:[0,1]
	v_pk_add_f32 v[2:3], v[12:13], v[24:25] neg_lo:[0,1] neg_hi:[0,1]
	v_mov_b32_e32 v28, v22
	v_pk_add_f32 v[0:1], v[0:1], v[2:3]
	v_pk_add_f32 v[2:3], v[16:17], v[24:25]
	v_pk_fma_f32 v[28:29], v[10:11], s[0:1], v[28:29] op_sel_hi:[1,0,1]
	v_pk_fma_f32 v[2:3], v[2:3], 0.5, v[32:33] op_sel_hi:[1,0,1] neg_lo:[1,0,0] neg_hi:[1,0,0]
	s_nop 0
	v_pk_fma_f32 v[10:11], v[26:27], s[2:3], v[2:3] op_sel:[1,0,0] op_sel_hi:[0,0,1] neg_lo:[1,0,0] neg_hi:[1,0,0]
	v_pk_fma_f32 v[2:3], v[26:27], s[2:3], v[2:3] op_sel:[1,0,0] op_sel_hi:[0,0,1]
	v_pk_fma_f32 v[2:3], v[20:21], s[4:5], v[2:3] op_sel:[1,0,0] op_sel_hi:[0,0,1] neg_lo:[1,0,0] neg_hi:[1,0,0]
	v_pk_fma_f32 v[10:11], v[20:21], s[4:5], v[10:11] op_sel:[1,0,0] op_sel_hi:[0,0,1]
	v_mov_b32_e32 v12, v10
	v_mov_b32_e32 v13, v3
	v_mov_b32_e32 v3, v11
	v_pk_fma_f32 v[12:13], v[0:1], s[0:1], v[12:13] op_sel_hi:[1,0,1]
	v_pk_fma_f32 v[0:1], v[0:1], s[0:1], v[2:3] op_sel_hi:[1,0,1]
	global_store_dwordx2 v[4:5], v[0:1], off
	global_store_dwordx2 v[6:7], v[12:13], off
	;; [unrolled: 1-line block ×3, first 2 shown]
.LBB0_19:
	s_endpgm
	.section	.rodata,"a",@progbits
	.p2align	6, 0x0
	.amdhsa_kernel fft_rtc_back_len910_factors_13_2_7_5_wgs_182_tpt_91_sp_ip_CI_sbrr_dirReg
		.amdhsa_group_segment_fixed_size 0
		.amdhsa_private_segment_fixed_size 0
		.amdhsa_kernarg_size 88
		.amdhsa_user_sgpr_count 2
		.amdhsa_user_sgpr_dispatch_ptr 0
		.amdhsa_user_sgpr_queue_ptr 0
		.amdhsa_user_sgpr_kernarg_segment_ptr 1
		.amdhsa_user_sgpr_dispatch_id 0
		.amdhsa_user_sgpr_kernarg_preload_length 0
		.amdhsa_user_sgpr_kernarg_preload_offset 0
		.amdhsa_user_sgpr_private_segment_size 0
		.amdhsa_uses_dynamic_stack 0
		.amdhsa_enable_private_segment 0
		.amdhsa_system_sgpr_workgroup_id_x 1
		.amdhsa_system_sgpr_workgroup_id_y 0
		.amdhsa_system_sgpr_workgroup_id_z 0
		.amdhsa_system_sgpr_workgroup_info 0
		.amdhsa_system_vgpr_workitem_id 0
		.amdhsa_next_free_vgpr 134
		.amdhsa_next_free_sgpr 38
		.amdhsa_accum_offset 136
		.amdhsa_reserve_vcc 1
		.amdhsa_float_round_mode_32 0
		.amdhsa_float_round_mode_16_64 0
		.amdhsa_float_denorm_mode_32 3
		.amdhsa_float_denorm_mode_16_64 3
		.amdhsa_dx10_clamp 1
		.amdhsa_ieee_mode 1
		.amdhsa_fp16_overflow 0
		.amdhsa_tg_split 0
		.amdhsa_exception_fp_ieee_invalid_op 0
		.amdhsa_exception_fp_denorm_src 0
		.amdhsa_exception_fp_ieee_div_zero 0
		.amdhsa_exception_fp_ieee_overflow 0
		.amdhsa_exception_fp_ieee_underflow 0
		.amdhsa_exception_fp_ieee_inexact 0
		.amdhsa_exception_int_div_zero 0
	.end_amdhsa_kernel
	.text
.Lfunc_end0:
	.size	fft_rtc_back_len910_factors_13_2_7_5_wgs_182_tpt_91_sp_ip_CI_sbrr_dirReg, .Lfunc_end0-fft_rtc_back_len910_factors_13_2_7_5_wgs_182_tpt_91_sp_ip_CI_sbrr_dirReg
                                        ; -- End function
	.section	.AMDGPU.csdata,"",@progbits
; Kernel info:
; codeLenInByte = 8260
; NumSgprs: 44
; NumVgprs: 134
; NumAgprs: 0
; TotalNumVgprs: 134
; ScratchSize: 0
; MemoryBound: 0
; FloatMode: 240
; IeeeMode: 1
; LDSByteSize: 0 bytes/workgroup (compile time only)
; SGPRBlocks: 5
; VGPRBlocks: 16
; NumSGPRsForWavesPerEU: 44
; NumVGPRsForWavesPerEU: 134
; AccumOffset: 136
; Occupancy: 3
; WaveLimiterHint : 1
; COMPUTE_PGM_RSRC2:SCRATCH_EN: 0
; COMPUTE_PGM_RSRC2:USER_SGPR: 2
; COMPUTE_PGM_RSRC2:TRAP_HANDLER: 0
; COMPUTE_PGM_RSRC2:TGID_X_EN: 1
; COMPUTE_PGM_RSRC2:TGID_Y_EN: 0
; COMPUTE_PGM_RSRC2:TGID_Z_EN: 0
; COMPUTE_PGM_RSRC2:TIDIG_COMP_CNT: 0
; COMPUTE_PGM_RSRC3_GFX90A:ACCUM_OFFSET: 33
; COMPUTE_PGM_RSRC3_GFX90A:TG_SPLIT: 0
	.text
	.p2alignl 6, 3212836864
	.fill 256, 4, 3212836864
	.type	__hip_cuid_30895ce16cb7bb5e,@object ; @__hip_cuid_30895ce16cb7bb5e
	.section	.bss,"aw",@nobits
	.globl	__hip_cuid_30895ce16cb7bb5e
__hip_cuid_30895ce16cb7bb5e:
	.byte	0                               ; 0x0
	.size	__hip_cuid_30895ce16cb7bb5e, 1

	.ident	"AMD clang version 19.0.0git (https://github.com/RadeonOpenCompute/llvm-project roc-6.4.0 25133 c7fe45cf4b819c5991fe208aaa96edf142730f1d)"
	.section	".note.GNU-stack","",@progbits
	.addrsig
	.addrsig_sym __hip_cuid_30895ce16cb7bb5e
	.amdgpu_metadata
---
amdhsa.kernels:
  - .agpr_count:     0
    .args:
      - .actual_access:  read_only
        .address_space:  global
        .offset:         0
        .size:           8
        .value_kind:     global_buffer
      - .offset:         8
        .size:           8
        .value_kind:     by_value
      - .actual_access:  read_only
        .address_space:  global
        .offset:         16
        .size:           8
        .value_kind:     global_buffer
      - .actual_access:  read_only
        .address_space:  global
        .offset:         24
        .size:           8
        .value_kind:     global_buffer
      - .offset:         32
        .size:           8
        .value_kind:     by_value
      - .actual_access:  read_only
        .address_space:  global
        .offset:         40
        .size:           8
        .value_kind:     global_buffer
      - .actual_access:  read_only
        .address_space:  global
        .offset:         48
        .size:           8
        .value_kind:     global_buffer
      - .offset:         56
        .size:           4
        .value_kind:     by_value
      - .actual_access:  read_only
        .address_space:  global
        .offset:         64
        .size:           8
        .value_kind:     global_buffer
      - .actual_access:  read_only
        .address_space:  global
        .offset:         72
        .size:           8
        .value_kind:     global_buffer
      - .address_space:  global
        .offset:         80
        .size:           8
        .value_kind:     global_buffer
    .group_segment_fixed_size: 0
    .kernarg_segment_align: 8
    .kernarg_segment_size: 88
    .language:       OpenCL C
    .language_version:
      - 2
      - 0
    .max_flat_workgroup_size: 182
    .name:           fft_rtc_back_len910_factors_13_2_7_5_wgs_182_tpt_91_sp_ip_CI_sbrr_dirReg
    .private_segment_fixed_size: 0
    .sgpr_count:     44
    .sgpr_spill_count: 0
    .symbol:         fft_rtc_back_len910_factors_13_2_7_5_wgs_182_tpt_91_sp_ip_CI_sbrr_dirReg.kd
    .uniform_work_group_size: 1
    .uses_dynamic_stack: false
    .vgpr_count:     134
    .vgpr_spill_count: 0
    .wavefront_size: 64
amdhsa.target:   amdgcn-amd-amdhsa--gfx950
amdhsa.version:
  - 1
  - 2
...

	.end_amdgpu_metadata
